;; amdgpu-corpus repo=zjin-lcf/HeCBench kind=compiled arch=gfx90a opt=O3
	.text
	.amdgcn_target "amdgcn-amd-amdhsa--gfx90a"
	.amdhsa_code_object_version 6
	.protected	_Z13compute_probsPKdS0_Pdiii ; -- Begin function _Z13compute_probsPKdS0_Pdiii
	.globl	_Z13compute_probsPKdS0_Pdiii
	.p2align	8
	.type	_Z13compute_probsPKdS0_Pdiii,@function
_Z13compute_probsPKdS0_Pdiii:           ; @_Z13compute_probsPKdS0_Pdiii
; %bb.0:
	s_load_dword s6, s[4:5], 0x34
	s_load_dwordx4 s[12:15], s[4:5], 0x18
	s_add_u32 s0, s0, s9
	s_addc_u32 s1, s1, 0
	s_waitcnt lgkmcnt(0)
	s_and_b32 s6, s6, 0xffff
	s_mul_i32 s8, s8, s6
	v_add_u32_e32 v0, s8, v0
	v_cmp_gt_i32_e32 vcc, s12, v0
	s_and_saveexec_b64 s[6:7], vcc
	s_cbranch_execz .LBB0_17
; %bb.1:
	s_load_dwordx2 s[10:11], s[4:5], 0x10
	s_cmp_gt_i32 s13, 0
	v_mul_lo_u32 v0, v0, s13
	s_cselect_b64 s[6:7], -1, 0
	s_cmp_lt_i32 s13, 1
	v_ashrrev_i32_e32 v1, 31, v0
	s_cbranch_scc1 .LBB0_4
; %bb.2:
	v_lshlrev_b64 v[2:3], 3, v[0:1]
	s_waitcnt lgkmcnt(0)
	v_mov_b32_e32 v4, s11
	v_add_co_u32_e32 v2, vcc, s10, v2
	v_addc_co_u32_e32 v3, vcc, v4, v3, vcc
	v_mov_b32_e32 v4, 0
	v_mov_b32_e32 v5, v4
	s_mov_b32 s8, s13
.LBB0_3:                                ; =>This Inner Loop Header: Depth=1
	global_store_dwordx2 v[2:3], v[4:5], off
	s_add_i32 s8, s8, -1
	v_add_co_u32_e32 v2, vcc, 8, v2
	s_cmp_eq_u32 s8, 0
	v_addc_co_u32_e32 v3, vcc, 0, v3, vcc
	s_cbranch_scc0 .LBB0_3
.LBB0_4:
	v_cndmask_b32_e64 v2, 0, 1, s[6:7]
	s_cmp_lt_i32 s14, 1
	v_cmp_ne_u32_e64 s[8:9], 1, v2
	s_cbranch_scc1 .LBB0_14
; %bb.5:
	s_load_dwordx4 s[16:19], s[4:5], 0x0
	s_add_i32 s12, s13, -1
	s_lshl_b32 s4, s12, 3
	v_mov_b32_e32 v2, 0
	v_add_u32_e32 v8, s4, v2
	s_cmp_gt_i32 s13, 1
	v_lshlrev_b64 v[2:3], 3, v[0:1]
	s_waitcnt lgkmcnt(0)
	v_mov_b32_e32 v4, s17
	v_add_co_u32_e32 v2, vcc, s16, v2
	s_cselect_b64 s[6:7], -1, 0
	v_addc_co_u32_e32 v3, vcc, v4, v3, vcc
	s_mov_b32 s5, 0
	v_cndmask_b32_e64 v4, 0, 1, s[6:7]
	v_cmp_ne_u32_e64 s[6:7], 1, v4
	v_mov_b32_e32 v9, s11
	s_mov_b32 s4, s5
	s_mov_b32 s15, s5
                                        ; implicit-def: $vgpr4_vgpr5
	s_branch .LBB0_7
.LBB0_6:                                ;   in Loop: Header=BB0_7 Depth=1
	v_add_u32_e32 v6, v10, v0
	v_ashrrev_i32_e32 v7, 31, v6
	v_lshlrev_b64 v[6:7], 3, v[6:7]
	v_add_co_u32_e32 v6, vcc, s10, v6
	v_addc_co_u32_e32 v7, vcc, v9, v7, vcc
	global_load_dwordx2 v[10:11], v[6:7], off
	s_add_i32 s15, s15, 1
	s_add_i32 s4, s4, s13
	s_cmp_eq_u32 s15, s14
	s_waitcnt vmcnt(0)
	v_add_f64 v[10:11], v[10:11], 1.0
	global_store_dwordx2 v[6:7], v[10:11], off
	s_cbranch_scc1 .LBB0_14
.LBB0_7:                                ; =>This Loop Header: Depth=1
                                        ;     Child Loop BB0_9 Depth 2
                                        ;     Child Loop BB0_13 Depth 2
	s_and_b64 vcc, exec, s[8:9]
	s_cbranch_vccnz .LBB0_11
; %bb.8:                                ;   in Loop: Header=BB0_7 Depth=1
	s_lshl_b64 s[16:17], s[4:5], 3
	s_add_u32 s16, s18, s16
	s_addc_u32 s17, s19, s17
	v_mov_b32_e32 v6, 0
	v_pk_mov_b32 v[4:5], v[2:3], v[2:3] op_sel:[0,1]
	s_mov_b32 s20, s13
.LBB0_9:                                ;   Parent Loop BB0_7 Depth=1
                                        ; =>  This Inner Loop Header: Depth=2
	global_load_dwordx2 v[10:11], v[4:5], off
	s_load_dwordx2 s[22:23], s[16:17], 0x0
	s_add_i32 s20, s20, -1
	s_add_u32 s16, s16, 8
	v_add_co_u32_e32 v4, vcc, 8, v4
	s_addc_u32 s17, s17, 0
	v_addc_co_u32_e32 v5, vcc, 0, v5, vcc
	s_cmp_lg_u32 s20, 0
	s_waitcnt vmcnt(0) lgkmcnt(0)
	v_add_f64 v[10:11], v[10:11], s[22:23]
	buffer_store_dword v11, v6, s[0:3], 0 offen offset:4
	buffer_store_dword v10, v6, s[0:3], 0 offen
	v_add_u32_e32 v6, 8, v6
	s_cbranch_scc1 .LBB0_9
; %bb.10:                               ;   in Loop: Header=BB0_7 Depth=1
	buffer_load_dword v4, v8, s[0:3], 0 offen
	buffer_load_dword v5, v8, s[0:3], 0 offen offset:4
.LBB0_11:                               ;   in Loop: Header=BB0_7 Depth=1
	s_and_b64 vcc, exec, s[6:7]
	v_mov_b32_e32 v10, s12
	s_cbranch_vccnz .LBB0_6
; %bb.12:                               ;   in Loop: Header=BB0_7 Depth=1
	v_mov_b32_e32 v11, 0
	s_mov_b32 s16, 0
	v_mov_b32_e32 v10, s12
	s_waitcnt vmcnt(0)
	v_pk_mov_b32 v[6:7], v[4:5], v[4:5] op_sel:[0,1]
.LBB0_13:                               ;   Parent Loop BB0_7 Depth=1
                                        ; =>  This Inner Loop Header: Depth=2
	buffer_load_dword v12, v11, s[0:3], 0 offen
	buffer_load_dword v13, v11, s[0:3], 0 offen offset:4
	v_mov_b32_e32 v14, s16
	s_add_i32 s16, s16, 1
	v_add_u32_e32 v11, 8, v11
	s_cmp_lg_u32 s12, s16
	s_waitcnt vmcnt(0)
	v_cmp_gt_f64_e32 vcc, v[12:13], v[6:7]
	v_cndmask_b32_e32 v10, v10, v14, vcc
	v_cndmask_b32_e32 v7, v7, v13, vcc
	;; [unrolled: 1-line block ×3, first 2 shown]
	s_cbranch_scc1 .LBB0_13
	s_branch .LBB0_6
.LBB0_14:
	s_and_b64 vcc, exec, s[8:9]
	s_cbranch_vccnz .LBB0_17
; %bb.15:
	v_lshlrev_b64 v[0:1], 3, v[0:1]
	s_waitcnt lgkmcnt(0)
	v_mov_b32_e32 v4, s11
	v_add_co_u32_e32 v0, vcc, s10, v0
	v_cvt_f64_i32_e32 v[2:3], s14
	v_addc_co_u32_e32 v1, vcc, v4, v1, vcc
.LBB0_16:                               ; =>This Inner Loop Header: Depth=1
	global_load_dwordx2 v[4:5], v[0:1], off
	s_add_i32 s13, s13, -1
	s_cmp_lg_u32 s13, 0
	s_waitcnt vmcnt(0)
	v_div_scale_f64 v[6:7], s[4:5], v[2:3], v[2:3], v[4:5]
	v_rcp_f64_e32 v[8:9], v[6:7]
	v_div_scale_f64 v[10:11], vcc, v[4:5], v[2:3], v[4:5]
	v_fma_f64 v[12:13], -v[6:7], v[8:9], 1.0
	v_fmac_f64_e32 v[8:9], v[8:9], v[12:13]
	v_fma_f64 v[12:13], -v[6:7], v[8:9], 1.0
	v_fmac_f64_e32 v[8:9], v[8:9], v[12:13]
	v_mul_f64 v[12:13], v[10:11], v[8:9]
	v_fma_f64 v[6:7], -v[6:7], v[12:13], v[10:11]
	v_div_fmas_f64 v[6:7], v[6:7], v[8:9], v[12:13]
	v_div_fixup_f64 v[4:5], v[6:7], v[2:3], v[4:5]
	global_store_dwordx2 v[0:1], v[4:5], off
	v_add_co_u32_e32 v0, vcc, 8, v0
	v_addc_co_u32_e32 v1, vcc, 0, v1, vcc
	s_cbranch_scc1 .LBB0_16
.LBB0_17:
	s_endpgm
	.section	.rodata,"a",@progbits
	.p2align	6, 0x0
	.amdhsa_kernel _Z13compute_probsPKdS0_Pdiii
		.amdhsa_group_segment_fixed_size 0
		.amdhsa_private_segment_fixed_size 176
		.amdhsa_kernarg_size 296
		.amdhsa_user_sgpr_count 8
		.amdhsa_user_sgpr_private_segment_buffer 1
		.amdhsa_user_sgpr_dispatch_ptr 0
		.amdhsa_user_sgpr_queue_ptr 0
		.amdhsa_user_sgpr_kernarg_segment_ptr 1
		.amdhsa_user_sgpr_dispatch_id 0
		.amdhsa_user_sgpr_flat_scratch_init 1
		.amdhsa_user_sgpr_kernarg_preload_length 0
		.amdhsa_user_sgpr_kernarg_preload_offset 0
		.amdhsa_user_sgpr_private_segment_size 0
		.amdhsa_uses_dynamic_stack 0
		.amdhsa_system_sgpr_private_segment_wavefront_offset 1
		.amdhsa_system_sgpr_workgroup_id_x 1
		.amdhsa_system_sgpr_workgroup_id_y 0
		.amdhsa_system_sgpr_workgroup_id_z 0
		.amdhsa_system_sgpr_workgroup_info 0
		.amdhsa_system_vgpr_workitem_id 0
		.amdhsa_next_free_vgpr 15
		.amdhsa_next_free_sgpr 24
		.amdhsa_accum_offset 16
		.amdhsa_reserve_vcc 1
		.amdhsa_reserve_flat_scratch 0
		.amdhsa_float_round_mode_32 0
		.amdhsa_float_round_mode_16_64 0
		.amdhsa_float_denorm_mode_32 3
		.amdhsa_float_denorm_mode_16_64 3
		.amdhsa_dx10_clamp 1
		.amdhsa_ieee_mode 1
		.amdhsa_fp16_overflow 0
		.amdhsa_tg_split 0
		.amdhsa_exception_fp_ieee_invalid_op 0
		.amdhsa_exception_fp_denorm_src 0
		.amdhsa_exception_fp_ieee_div_zero 0
		.amdhsa_exception_fp_ieee_overflow 0
		.amdhsa_exception_fp_ieee_underflow 0
		.amdhsa_exception_fp_ieee_inexact 0
		.amdhsa_exception_int_div_zero 0
	.end_amdhsa_kernel
	.text
.Lfunc_end0:
	.size	_Z13compute_probsPKdS0_Pdiii, .Lfunc_end0-_Z13compute_probsPKdS0_Pdiii
                                        ; -- End function
	.section	.AMDGPU.csdata,"",@progbits
; Kernel info:
; codeLenInByte = 720
; NumSgprs: 28
; NumVgprs: 15
; NumAgprs: 0
; TotalNumVgprs: 15
; ScratchSize: 176
; MemoryBound: 0
; FloatMode: 240
; IeeeMode: 1
; LDSByteSize: 0 bytes/workgroup (compile time only)
; SGPRBlocks: 3
; VGPRBlocks: 1
; NumSGPRsForWavesPerEU: 28
; NumVGPRsForWavesPerEU: 15
; AccumOffset: 16
; Occupancy: 8
; WaveLimiterHint : 0
; COMPUTE_PGM_RSRC2:SCRATCH_EN: 1
; COMPUTE_PGM_RSRC2:USER_SGPR: 8
; COMPUTE_PGM_RSRC2:TRAP_HANDLER: 0
; COMPUTE_PGM_RSRC2:TGID_X_EN: 1
; COMPUTE_PGM_RSRC2:TGID_Y_EN: 0
; COMPUTE_PGM_RSRC2:TGID_Z_EN: 0
; COMPUTE_PGM_RSRC2:TIDIG_COMP_CNT: 0
; COMPUTE_PGM_RSRC3_GFX90A:ACCUM_OFFSET: 3
; COMPUTE_PGM_RSRC3_GFX90A:TG_SPLIT: 0
	.text
	.protected	_Z25compute_probs_unitStridesPKdS0_Pdiii ; -- Begin function _Z25compute_probs_unitStridesPKdS0_Pdiii
	.globl	_Z25compute_probs_unitStridesPKdS0_Pdiii
	.p2align	8
	.type	_Z25compute_probs_unitStridesPKdS0_Pdiii,@function
_Z25compute_probs_unitStridesPKdS0_Pdiii: ; @_Z25compute_probs_unitStridesPKdS0_Pdiii
; %bb.0:
	s_load_dword s6, s[4:5], 0x34
	s_load_dwordx4 s[12:15], s[4:5], 0x18
	s_add_u32 s0, s0, s9
	s_addc_u32 s1, s1, 0
	s_waitcnt lgkmcnt(0)
	s_and_b32 s6, s6, 0xffff
	s_mul_i32 s8, s8, s6
	v_add_u32_e32 v0, s8, v0
	v_cmp_gt_i32_e32 vcc, s12, v0
	s_and_saveexec_b64 s[6:7], vcc
	s_cbranch_execz .LBB1_17
; %bb.1:
	s_load_dwordx2 s[10:11], s[4:5], 0x10
	s_cmp_gt_i32 s13, 0
	s_cselect_b64 s[6:7], -1, 0
	s_cmp_lt_i32 s13, 1
	s_cbranch_scc1 .LBB1_4
; %bb.2:
	v_mov_b32_e32 v2, 0
	s_waitcnt lgkmcnt(0)
	v_mov_b32_e32 v1, s11
	v_mov_b32_e32 v3, v2
	;; [unrolled: 1-line block ×3, first 2 shown]
	s_mov_b32 s8, s13
.LBB1_3:                                ; =>This Inner Loop Header: Depth=1
	v_ashrrev_i32_e32 v5, 31, v4
	v_lshlrev_b64 v[6:7], 3, v[4:5]
	v_add_co_u32_e32 v6, vcc, s10, v6
	s_add_i32 s8, s8, -1
	v_addc_co_u32_e32 v7, vcc, v1, v7, vcc
	s_cmp_eq_u32 s8, 0
	v_add_u32_e32 v4, s12, v4
	global_store_dwordx2 v[6:7], v[2:3], off
	s_cbranch_scc0 .LBB1_3
.LBB1_4:
	v_cndmask_b32_e64 v1, 0, 1, s[6:7]
	s_cmp_lt_i32 s14, 1
	v_cmp_ne_u32_e64 s[8:9], 1, v1
	s_cbranch_scc1 .LBB1_14
; %bb.5:
	s_add_i32 s22, s13, -1
	s_load_dwordx4 s[16:19], s[4:5], 0x0
	s_lshl_b32 s4, s22, 3
	s_cmp_gt_i32 s13, 1
	s_cselect_b64 s[6:7], -1, 0
	v_mov_b32_e32 v1, 0
	s_mov_b32 s15, 0
	v_cndmask_b32_e64 v2, 0, 1, s[6:7]
	v_add_u32_e32 v1, s4, v1
	s_lshl_b64 s[4:5], s[14:15], 3
	v_cmp_ne_u32_e64 s[6:7], 1, v2
	s_waitcnt lgkmcnt(0)
	v_mov_b32_e32 v6, s11
                                        ; implicit-def: $vgpr2_vgpr3
	s_branch .LBB1_7
.LBB1_6:                                ;   in Loop: Header=BB1_7 Depth=1
	v_mad_u64_u32 v[4:5], s[20:21], v7, s12, v[0:1]
	v_ashrrev_i32_e32 v5, 31, v4
	v_lshlrev_b64 v[4:5], 3, v[4:5]
	v_add_co_u32_e32 v4, vcc, s10, v4
	v_addc_co_u32_e32 v5, vcc, v6, v5, vcc
	global_load_dwordx2 v[8:9], v[4:5], off
	s_add_i32 s15, s15, 1
	s_add_u32 s18, s18, 8
	s_addc_u32 s19, s19, 0
	s_cmp_eq_u32 s15, s14
	s_waitcnt vmcnt(0)
	v_add_f64 v[8:9], v[8:9], 1.0
	global_store_dwordx2 v[4:5], v[8:9], off
	s_cbranch_scc1 .LBB1_14
.LBB1_7:                                ; =>This Loop Header: Depth=1
                                        ;     Child Loop BB1_9 Depth 2
                                        ;     Child Loop BB1_13 Depth 2
	s_and_b64 vcc, exec, s[8:9]
	s_cbranch_vccnz .LBB1_11
; %bb.8:                                ;   in Loop: Header=BB1_7 Depth=1
	v_mov_b32_e32 v4, 0
	v_mov_b32_e32 v2, v0
	s_mov_b64 s[20:21], s[18:19]
	s_mov_b32 s23, s13
.LBB1_9:                                ;   Parent Loop BB1_7 Depth=1
                                        ; =>  This Inner Loop Header: Depth=2
	v_ashrrev_i32_e32 v3, 31, v2
	v_lshlrev_b64 v[8:9], 3, v[2:3]
	v_mov_b32_e32 v5, s17
	v_add_co_u32_e32 v8, vcc, s16, v8
	v_addc_co_u32_e32 v9, vcc, v5, v9, vcc
	global_load_dwordx2 v[8:9], v[8:9], off
	s_load_dwordx2 s[24:25], s[20:21], 0x0
	s_add_i32 s23, s23, -1
	s_add_u32 s20, s20, s4
	s_addc_u32 s21, s21, s5
	v_add_u32_e32 v2, s12, v2
	s_cmp_lg_u32 s23, 0
	s_waitcnt vmcnt(0) lgkmcnt(0)
	v_add_f64 v[8:9], v[8:9], s[24:25]
	buffer_store_dword v9, v4, s[0:3], 0 offen offset:4
	buffer_store_dword v8, v4, s[0:3], 0 offen
	v_add_u32_e32 v4, 8, v4
	s_cbranch_scc1 .LBB1_9
; %bb.10:                               ;   in Loop: Header=BB1_7 Depth=1
	buffer_load_dword v2, v1, s[0:3], 0 offen
	buffer_load_dword v3, v1, s[0:3], 0 offen offset:4
.LBB1_11:                               ;   in Loop: Header=BB1_7 Depth=1
	s_and_b64 vcc, exec, s[6:7]
	v_mov_b32_e32 v7, s22
	s_cbranch_vccnz .LBB1_6
; %bb.12:                               ;   in Loop: Header=BB1_7 Depth=1
	v_mov_b32_e32 v8, 0
	s_mov_b32 s20, 0
	v_mov_b32_e32 v7, s22
	s_waitcnt vmcnt(0)
	v_pk_mov_b32 v[4:5], v[2:3], v[2:3] op_sel:[0,1]
.LBB1_13:                               ;   Parent Loop BB1_7 Depth=1
                                        ; =>  This Inner Loop Header: Depth=2
	buffer_load_dword v10, v8, s[0:3], 0 offen
	buffer_load_dword v11, v8, s[0:3], 0 offen offset:4
	v_mov_b32_e32 v9, s20
	s_add_i32 s20, s20, 1
	v_add_u32_e32 v8, 8, v8
	s_cmp_lg_u32 s22, s20
	s_waitcnt vmcnt(0)
	v_cmp_gt_f64_e32 vcc, v[10:11], v[4:5]
	v_cndmask_b32_e32 v7, v7, v9, vcc
	v_cndmask_b32_e32 v5, v5, v11, vcc
	;; [unrolled: 1-line block ×3, first 2 shown]
	s_cbranch_scc1 .LBB1_13
	s_branch .LBB1_6
.LBB1_14:
	s_and_b64 vcc, exec, s[8:9]
	s_cbranch_vccnz .LBB1_17
; %bb.15:
	v_cvt_f64_i32_e32 v[2:3], s14
	s_waitcnt lgkmcnt(0)
	v_mov_b32_e32 v4, s11
.LBB1_16:                               ; =>This Inner Loop Header: Depth=1
	v_ashrrev_i32_e32 v1, 31, v0
	v_lshlrev_b64 v[6:7], 3, v[0:1]
	v_add_co_u32_e32 v6, vcc, s10, v6
	v_addc_co_u32_e32 v7, vcc, v4, v7, vcc
	global_load_dwordx2 v[8:9], v[6:7], off
	s_add_i32 s13, s13, -1
	s_cmp_lg_u32 s13, 0
	v_add_u32_e32 v0, s12, v0
	s_waitcnt vmcnt(0)
	v_div_scale_f64 v[10:11], s[4:5], v[2:3], v[2:3], v[8:9]
	v_rcp_f64_e32 v[12:13], v[10:11]
	v_div_scale_f64 v[14:15], vcc, v[8:9], v[2:3], v[8:9]
	v_fma_f64 v[16:17], -v[10:11], v[12:13], 1.0
	v_fmac_f64_e32 v[12:13], v[12:13], v[16:17]
	v_fma_f64 v[16:17], -v[10:11], v[12:13], 1.0
	v_fmac_f64_e32 v[12:13], v[12:13], v[16:17]
	v_mul_f64 v[16:17], v[14:15], v[12:13]
	v_fma_f64 v[10:11], -v[10:11], v[16:17], v[14:15]
	v_div_fmas_f64 v[10:11], v[10:11], v[12:13], v[16:17]
	v_div_fixup_f64 v[8:9], v[10:11], v[2:3], v[8:9]
	global_store_dwordx2 v[6:7], v[8:9], off
	s_cbranch_scc1 .LBB1_16
.LBB1_17:
	s_endpgm
	.section	.rodata,"a",@progbits
	.p2align	6, 0x0
	.amdhsa_kernel _Z25compute_probs_unitStridesPKdS0_Pdiii
		.amdhsa_group_segment_fixed_size 0
		.amdhsa_private_segment_fixed_size 176
		.amdhsa_kernarg_size 296
		.amdhsa_user_sgpr_count 8
		.amdhsa_user_sgpr_private_segment_buffer 1
		.amdhsa_user_sgpr_dispatch_ptr 0
		.amdhsa_user_sgpr_queue_ptr 0
		.amdhsa_user_sgpr_kernarg_segment_ptr 1
		.amdhsa_user_sgpr_dispatch_id 0
		.amdhsa_user_sgpr_flat_scratch_init 1
		.amdhsa_user_sgpr_kernarg_preload_length 0
		.amdhsa_user_sgpr_kernarg_preload_offset 0
		.amdhsa_user_sgpr_private_segment_size 0
		.amdhsa_uses_dynamic_stack 0
		.amdhsa_system_sgpr_private_segment_wavefront_offset 1
		.amdhsa_system_sgpr_workgroup_id_x 1
		.amdhsa_system_sgpr_workgroup_id_y 0
		.amdhsa_system_sgpr_workgroup_id_z 0
		.amdhsa_system_sgpr_workgroup_info 0
		.amdhsa_system_vgpr_workitem_id 0
		.amdhsa_next_free_vgpr 18
		.amdhsa_next_free_sgpr 26
		.amdhsa_accum_offset 20
		.amdhsa_reserve_vcc 1
		.amdhsa_reserve_flat_scratch 0
		.amdhsa_float_round_mode_32 0
		.amdhsa_float_round_mode_16_64 0
		.amdhsa_float_denorm_mode_32 3
		.amdhsa_float_denorm_mode_16_64 3
		.amdhsa_dx10_clamp 1
		.amdhsa_ieee_mode 1
		.amdhsa_fp16_overflow 0
		.amdhsa_tg_split 0
		.amdhsa_exception_fp_ieee_invalid_op 0
		.amdhsa_exception_fp_denorm_src 0
		.amdhsa_exception_fp_ieee_div_zero 0
		.amdhsa_exception_fp_ieee_overflow 0
		.amdhsa_exception_fp_ieee_underflow 0
		.amdhsa_exception_fp_ieee_inexact 0
		.amdhsa_exception_int_div_zero 0
	.end_amdhsa_kernel
	.text
.Lfunc_end1:
	.size	_Z25compute_probs_unitStridesPKdS0_Pdiii, .Lfunc_end1-_Z25compute_probs_unitStridesPKdS0_Pdiii
                                        ; -- End function
	.section	.AMDGPU.csdata,"",@progbits
; Kernel info:
; codeLenInByte = 704
; NumSgprs: 30
; NumVgprs: 18
; NumAgprs: 0
; TotalNumVgprs: 18
; ScratchSize: 176
; MemoryBound: 0
; FloatMode: 240
; IeeeMode: 1
; LDSByteSize: 0 bytes/workgroup (compile time only)
; SGPRBlocks: 3
; VGPRBlocks: 2
; NumSGPRsForWavesPerEU: 30
; NumVGPRsForWavesPerEU: 18
; AccumOffset: 20
; Occupancy: 8
; WaveLimiterHint : 0
; COMPUTE_PGM_RSRC2:SCRATCH_EN: 1
; COMPUTE_PGM_RSRC2:USER_SGPR: 8
; COMPUTE_PGM_RSRC2:TRAP_HANDLER: 0
; COMPUTE_PGM_RSRC2:TGID_X_EN: 1
; COMPUTE_PGM_RSRC2:TGID_Y_EN: 0
; COMPUTE_PGM_RSRC2:TGID_Z_EN: 0
; COMPUTE_PGM_RSRC2:TIDIG_COMP_CNT: 0
; COMPUTE_PGM_RSRC3_GFX90A:ACCUM_OFFSET: 4
; COMPUTE_PGM_RSRC3_GFX90A:TG_SPLIT: 0
	.text
	.protected	_Z35compute_probs_unitStrides_sharedMemPKdS0_Pdiii ; -- Begin function _Z35compute_probs_unitStrides_sharedMemPKdS0_Pdiii
	.globl	_Z35compute_probs_unitStrides_sharedMemPKdS0_Pdiii
	.p2align	8
	.type	_Z35compute_probs_unitStrides_sharedMemPKdS0_Pdiii,@function
_Z35compute_probs_unitStrides_sharedMemPKdS0_Pdiii: ; @_Z35compute_probs_unitStrides_sharedMemPKdS0_Pdiii
; %bb.0:
	s_load_dword s0, s[4:5], 0x34
	s_load_dwordx4 s[8:11], s[4:5], 0x18
	s_waitcnt lgkmcnt(0)
	s_and_b32 s18, s0, 0xffff
	s_mul_i32 s6, s6, s18
	v_add_u32_e32 v2, s6, v0
	v_cmp_gt_i32_e32 vcc, s8, v2
	s_and_saveexec_b64 s[0:1], vcc
	s_cbranch_execz .LBB2_18
; %bb.1:
	s_cmp_gt_i32 s9, 0
	s_cselect_b64 s[0:1], -1, 0
	s_cmp_lt_i32 s9, 1
	v_lshl_add_u32 v6, v0, 3, 0
	s_cbranch_scc1 .LBB2_4
; %bb.2:
	v_mov_b32_e32 v4, 0
	s_lshl_b32 s2, s18, 3
	v_mov_b32_e32 v5, v4
	v_mov_b32_e32 v1, v6
	s_mov_b32 s3, s9
.LBB2_3:                                ; =>This Inner Loop Header: Depth=1
	s_add_i32 s3, s3, -1
	ds_write_b64 v1, v[4:5]
	s_cmp_eq_u32 s3, 0
	v_add_u32_e32 v1, s2, v1
	s_cbranch_scc0 .LBB2_3
.LBB2_4:
	v_cndmask_b32_e64 v1, 0, 1, s[0:1]
	s_cmp_lt_i32 s10, 1
	v_cmp_ne_u32_e64 s[0:1], 1, v1
	s_cbranch_scc1 .LBB2_13
; %bb.5:
	s_mul_i32 s2, s18, s9
	s_lshl_b32 s3, s2, 3
	s_load_dwordx4 s[12:15], s[4:5], 0x0
	s_add_i32 s3, s3, 0
	s_add_i32 s19, s9, -1
	s_sub_i32 s20, s2, s18
	s_cmp_gt_i32 s9, 1
	v_lshl_add_u32 v3, v0, 3, s3
	s_cselect_b64 s[2:3], -1, 0
	s_mov_b32 s11, 0
	v_cndmask_b32_e64 v0, 0, 1, s[2:3]
	v_lshl_add_u32 v4, s20, 3, v3
	s_lshl_b32 s21, s18, 3
	s_lshl_b64 s[6:7], s[10:11], 3
	v_cmp_ne_u32_e64 s[2:3], 1, v0
	s_branch .LBB2_7
.LBB2_6:                                ;   in Loop: Header=BB2_7 Depth=1
	v_lshl_add_u32 v5, v0, 3, v6
	ds_read_b64 v[0:1], v5
	s_add_i32 s11, s11, 1
	s_add_u32 s14, s14, 8
	s_addc_u32 s15, s15, 0
	s_cmp_eq_u32 s11, s10
	s_waitcnt lgkmcnt(0)
	v_add_f64 v[0:1], v[0:1], 1.0
	ds_write_b64 v5, v[0:1]
	s_cbranch_scc1 .LBB2_13
.LBB2_7:                                ; =>This Loop Header: Depth=1
                                        ;     Child Loop BB2_8 Depth 2
                                        ;     Child Loop BB2_11 Depth 2
	s_and_b64 vcc, exec, s[0:1]
	v_mov_b32_e32 v0, v2
	s_waitcnt lgkmcnt(0)
	s_mov_b64 s[16:17], s[14:15]
	v_mov_b32_e32 v5, v3
	s_mov_b32 s22, s9
	s_cbranch_vccnz .LBB2_9
.LBB2_8:                                ;   Parent Loop BB2_7 Depth=1
                                        ; =>  This Inner Loop Header: Depth=2
	v_ashrrev_i32_e32 v1, 31, v0
	v_lshlrev_b64 v[8:9], 3, v[0:1]
	v_mov_b32_e32 v7, s13
	v_add_co_u32_e32 v8, vcc, s12, v8
	v_addc_co_u32_e32 v9, vcc, v7, v9, vcc
	global_load_dwordx2 v[8:9], v[8:9], off
	s_load_dwordx2 s[24:25], s[16:17], 0x0
	s_add_i32 s22, s22, -1
	s_add_u32 s16, s16, s6
	s_addc_u32 s17, s17, s7
	v_add_u32_e32 v0, s8, v0
	s_cmp_lg_u32 s22, 0
	s_waitcnt vmcnt(0) lgkmcnt(0)
	v_add_f64 v[8:9], v[8:9], s[24:25]
	ds_write_b64 v5, v[8:9]
	v_add_u32_e32 v5, s21, v5
	s_cbranch_scc1 .LBB2_8
.LBB2_9:                                ;   in Loop: Header=BB2_7 Depth=1
	s_and_b64 vcc, exec, s[2:3]
	v_mov_b32_e32 v0, s20
	s_cbranch_vccnz .LBB2_6
; %bb.10:                               ;   in Loop: Header=BB2_7 Depth=1
	ds_read_b64 v[0:1], v4
	s_mov_b32 s16, 0
	v_mov_b32_e32 v5, s19
	v_mov_b32_e32 v7, v3
.LBB2_11:                               ;   Parent Loop BB2_7 Depth=1
                                        ; =>  This Inner Loop Header: Depth=2
	ds_read_b64 v[8:9], v7
	v_mov_b32_e32 v10, s16
	s_add_i32 s16, s16, 1
	v_add_u32_e32 v7, s21, v7
	s_cmp_lg_u32 s19, s16
	s_waitcnt lgkmcnt(0)
	v_cmp_gt_f64_e32 vcc, v[8:9], v[0:1]
	v_cndmask_b32_e32 v1, v1, v9, vcc
	v_cndmask_b32_e32 v0, v0, v8, vcc
	;; [unrolled: 1-line block ×3, first 2 shown]
	s_cbranch_scc1 .LBB2_11
; %bb.12:                               ;   in Loop: Header=BB2_7 Depth=1
	v_mul_lo_u32 v0, v5, s18
	s_branch .LBB2_6
.LBB2_13:
	s_and_b64 vcc, exec, s[0:1]
	s_cbranch_vccnz .LBB2_18
; %bb.14:
	s_load_dwordx2 s[0:1], s[4:5], 0x10
	v_cvt_f64_i32_e32 v[0:1], s10
	s_lshl_b32 s2, s18, 3
	v_mov_b32_e32 v3, v6
	s_mov_b32 s3, s9
.LBB2_15:                               ; =>This Inner Loop Header: Depth=1
	ds_read_b64 v[4:5], v3
	s_add_i32 s3, s3, -1
	s_cmp_eq_u32 s3, 0
	s_waitcnt lgkmcnt(0)
	v_div_scale_f64 v[8:9], s[4:5], v[0:1], v[0:1], v[4:5]
	v_rcp_f64_e32 v[10:11], v[8:9]
	v_div_scale_f64 v[12:13], vcc, v[4:5], v[0:1], v[4:5]
	v_fma_f64 v[14:15], -v[8:9], v[10:11], 1.0
	v_fmac_f64_e32 v[10:11], v[10:11], v[14:15]
	v_fma_f64 v[14:15], -v[8:9], v[10:11], 1.0
	v_fmac_f64_e32 v[10:11], v[10:11], v[14:15]
	v_mul_f64 v[14:15], v[12:13], v[10:11]
	v_fma_f64 v[8:9], -v[8:9], v[14:15], v[12:13]
	v_div_fmas_f64 v[8:9], v[8:9], v[10:11], v[14:15]
	v_div_fixup_f64 v[4:5], v[8:9], v[0:1], v[4:5]
	ds_write_b64 v3, v[4:5]
	v_add_u32_e32 v3, s2, v3
	s_cbranch_scc0 .LBB2_15
; %bb.16:
	v_mov_b32_e32 v0, s1
.LBB2_17:                               ; =>This Inner Loop Header: Depth=1
	ds_read_b64 v[4:5], v6
	v_ashrrev_i32_e32 v3, 31, v2
	v_lshlrev_b64 v[8:9], 3, v[2:3]
	s_add_i32 s9, s9, -1
	v_add_co_u32_e32 v8, vcc, s0, v8
	v_add_u32_e32 v6, s2, v6
	v_add_u32_e32 v2, s8, v2
	s_cmp_lg_u32 s9, 0
	v_addc_co_u32_e32 v9, vcc, v0, v9, vcc
	s_waitcnt lgkmcnt(0)
	global_store_dwordx2 v[8:9], v[4:5], off
	s_cbranch_scc1 .LBB2_17
.LBB2_18:
	s_endpgm
	.section	.rodata,"a",@progbits
	.p2align	6, 0x0
	.amdhsa_kernel _Z35compute_probs_unitStrides_sharedMemPKdS0_Pdiii
		.amdhsa_group_segment_fixed_size 0
		.amdhsa_private_segment_fixed_size 0
		.amdhsa_kernarg_size 296
		.amdhsa_user_sgpr_count 6
		.amdhsa_user_sgpr_private_segment_buffer 1
		.amdhsa_user_sgpr_dispatch_ptr 0
		.amdhsa_user_sgpr_queue_ptr 0
		.amdhsa_user_sgpr_kernarg_segment_ptr 1
		.amdhsa_user_sgpr_dispatch_id 0
		.amdhsa_user_sgpr_flat_scratch_init 0
		.amdhsa_user_sgpr_kernarg_preload_length 0
		.amdhsa_user_sgpr_kernarg_preload_offset 0
		.amdhsa_user_sgpr_private_segment_size 0
		.amdhsa_uses_dynamic_stack 0
		.amdhsa_system_sgpr_private_segment_wavefront_offset 0
		.amdhsa_system_sgpr_workgroup_id_x 1
		.amdhsa_system_sgpr_workgroup_id_y 0
		.amdhsa_system_sgpr_workgroup_id_z 0
		.amdhsa_system_sgpr_workgroup_info 0
		.amdhsa_system_vgpr_workitem_id 0
		.amdhsa_next_free_vgpr 16
		.amdhsa_next_free_sgpr 26
		.amdhsa_accum_offset 16
		.amdhsa_reserve_vcc 1
		.amdhsa_reserve_flat_scratch 0
		.amdhsa_float_round_mode_32 0
		.amdhsa_float_round_mode_16_64 0
		.amdhsa_float_denorm_mode_32 3
		.amdhsa_float_denorm_mode_16_64 3
		.amdhsa_dx10_clamp 1
		.amdhsa_ieee_mode 1
		.amdhsa_fp16_overflow 0
		.amdhsa_tg_split 0
		.amdhsa_exception_fp_ieee_invalid_op 0
		.amdhsa_exception_fp_denorm_src 0
		.amdhsa_exception_fp_ieee_div_zero 0
		.amdhsa_exception_fp_ieee_overflow 0
		.amdhsa_exception_fp_ieee_underflow 0
		.amdhsa_exception_fp_ieee_inexact 0
		.amdhsa_exception_int_div_zero 0
	.end_amdhsa_kernel
	.text
.Lfunc_end2:
	.size	_Z35compute_probs_unitStrides_sharedMemPKdS0_Pdiii, .Lfunc_end2-_Z35compute_probs_unitStrides_sharedMemPKdS0_Pdiii
                                        ; -- End function
	.section	.AMDGPU.csdata,"",@progbits
; Kernel info:
; codeLenInByte = 700
; NumSgprs: 30
; NumVgprs: 16
; NumAgprs: 0
; TotalNumVgprs: 16
; ScratchSize: 0
; MemoryBound: 0
; FloatMode: 240
; IeeeMode: 1
; LDSByteSize: 0 bytes/workgroup (compile time only)
; SGPRBlocks: 3
; VGPRBlocks: 1
; NumSGPRsForWavesPerEU: 30
; NumVGPRsForWavesPerEU: 16
; AccumOffset: 16
; Occupancy: 8
; WaveLimiterHint : 0
; COMPUTE_PGM_RSRC2:SCRATCH_EN: 0
; COMPUTE_PGM_RSRC2:USER_SGPR: 6
; COMPUTE_PGM_RSRC2:TRAP_HANDLER: 0
; COMPUTE_PGM_RSRC2:TGID_X_EN: 1
; COMPUTE_PGM_RSRC2:TGID_Y_EN: 0
; COMPUTE_PGM_RSRC2:TGID_Z_EN: 0
; COMPUTE_PGM_RSRC2:TIDIG_COMP_CNT: 0
; COMPUTE_PGM_RSRC3_GFX90A:ACCUM_OFFSET: 3
; COMPUTE_PGM_RSRC3_GFX90A:TG_SPLIT: 0
	.text
	.p2alignl 6, 3212836864
	.fill 256, 4, 3212836864
	.type	__hip_cuid_1c54e165ab8d1949,@object ; @__hip_cuid_1c54e165ab8d1949
	.section	.bss,"aw",@nobits
	.globl	__hip_cuid_1c54e165ab8d1949
__hip_cuid_1c54e165ab8d1949:
	.byte	0                               ; 0x0
	.size	__hip_cuid_1c54e165ab8d1949, 1

	.ident	"AMD clang version 19.0.0git (https://github.com/RadeonOpenCompute/llvm-project roc-6.4.0 25133 c7fe45cf4b819c5991fe208aaa96edf142730f1d)"
	.section	".note.GNU-stack","",@progbits
	.addrsig
	.addrsig_sym __hip_cuid_1c54e165ab8d1949
	.amdgpu_metadata
---
amdhsa.kernels:
  - .agpr_count:     0
    .args:
      - .actual_access:  read_only
        .address_space:  global
        .offset:         0
        .size:           8
        .value_kind:     global_buffer
      - .actual_access:  read_only
        .address_space:  global
        .offset:         8
        .size:           8
        .value_kind:     global_buffer
      - .address_space:  global
        .offset:         16
        .size:           8
        .value_kind:     global_buffer
      - .offset:         24
        .size:           4
        .value_kind:     by_value
      - .offset:         28
        .size:           4
        .value_kind:     by_value
      - .offset:         32
        .size:           4
        .value_kind:     by_value
      - .offset:         40
        .size:           4
        .value_kind:     hidden_block_count_x
      - .offset:         44
        .size:           4
        .value_kind:     hidden_block_count_y
      - .offset:         48
        .size:           4
        .value_kind:     hidden_block_count_z
      - .offset:         52
        .size:           2
        .value_kind:     hidden_group_size_x
      - .offset:         54
        .size:           2
        .value_kind:     hidden_group_size_y
      - .offset:         56
        .size:           2
        .value_kind:     hidden_group_size_z
      - .offset:         58
        .size:           2
        .value_kind:     hidden_remainder_x
      - .offset:         60
        .size:           2
        .value_kind:     hidden_remainder_y
      - .offset:         62
        .size:           2
        .value_kind:     hidden_remainder_z
      - .offset:         80
        .size:           8
        .value_kind:     hidden_global_offset_x
      - .offset:         88
        .size:           8
        .value_kind:     hidden_global_offset_y
      - .offset:         96
        .size:           8
        .value_kind:     hidden_global_offset_z
      - .offset:         104
        .size:           2
        .value_kind:     hidden_grid_dims
    .group_segment_fixed_size: 0
    .kernarg_segment_align: 8
    .kernarg_segment_size: 296
    .language:       OpenCL C
    .language_version:
      - 2
      - 0
    .max_flat_workgroup_size: 1024
    .name:           _Z13compute_probsPKdS0_Pdiii
    .private_segment_fixed_size: 176
    .sgpr_count:     28
    .sgpr_spill_count: 0
    .symbol:         _Z13compute_probsPKdS0_Pdiii.kd
    .uniform_work_group_size: 1
    .uses_dynamic_stack: false
    .vgpr_count:     15
    .vgpr_spill_count: 0
    .wavefront_size: 64
  - .agpr_count:     0
    .args:
      - .actual_access:  read_only
        .address_space:  global
        .offset:         0
        .size:           8
        .value_kind:     global_buffer
      - .actual_access:  read_only
        .address_space:  global
        .offset:         8
        .size:           8
        .value_kind:     global_buffer
      - .address_space:  global
        .offset:         16
        .size:           8
        .value_kind:     global_buffer
      - .offset:         24
        .size:           4
        .value_kind:     by_value
      - .offset:         28
        .size:           4
        .value_kind:     by_value
      - .offset:         32
        .size:           4
        .value_kind:     by_value
      - .offset:         40
        .size:           4
        .value_kind:     hidden_block_count_x
      - .offset:         44
        .size:           4
        .value_kind:     hidden_block_count_y
      - .offset:         48
        .size:           4
        .value_kind:     hidden_block_count_z
      - .offset:         52
        .size:           2
        .value_kind:     hidden_group_size_x
      - .offset:         54
        .size:           2
        .value_kind:     hidden_group_size_y
      - .offset:         56
        .size:           2
        .value_kind:     hidden_group_size_z
      - .offset:         58
        .size:           2
        .value_kind:     hidden_remainder_x
      - .offset:         60
        .size:           2
        .value_kind:     hidden_remainder_y
      - .offset:         62
        .size:           2
        .value_kind:     hidden_remainder_z
      - .offset:         80
        .size:           8
        .value_kind:     hidden_global_offset_x
      - .offset:         88
        .size:           8
        .value_kind:     hidden_global_offset_y
      - .offset:         96
        .size:           8
        .value_kind:     hidden_global_offset_z
      - .offset:         104
        .size:           2
        .value_kind:     hidden_grid_dims
    .group_segment_fixed_size: 0
    .kernarg_segment_align: 8
    .kernarg_segment_size: 296
    .language:       OpenCL C
    .language_version:
      - 2
      - 0
    .max_flat_workgroup_size: 1024
    .name:           _Z25compute_probs_unitStridesPKdS0_Pdiii
    .private_segment_fixed_size: 176
    .sgpr_count:     30
    .sgpr_spill_count: 0
    .symbol:         _Z25compute_probs_unitStridesPKdS0_Pdiii.kd
    .uniform_work_group_size: 1
    .uses_dynamic_stack: false
    .vgpr_count:     18
    .vgpr_spill_count: 0
    .wavefront_size: 64
  - .agpr_count:     0
    .args:
      - .actual_access:  read_only
        .address_space:  global
        .offset:         0
        .size:           8
        .value_kind:     global_buffer
      - .actual_access:  read_only
        .address_space:  global
        .offset:         8
        .size:           8
        .value_kind:     global_buffer
      - .actual_access:  write_only
        .address_space:  global
        .offset:         16
        .size:           8
        .value_kind:     global_buffer
      - .offset:         24
        .size:           4
        .value_kind:     by_value
      - .offset:         28
        .size:           4
        .value_kind:     by_value
      - .offset:         32
        .size:           4
        .value_kind:     by_value
      - .offset:         40
        .size:           4
        .value_kind:     hidden_block_count_x
      - .offset:         44
        .size:           4
        .value_kind:     hidden_block_count_y
      - .offset:         48
        .size:           4
        .value_kind:     hidden_block_count_z
      - .offset:         52
        .size:           2
        .value_kind:     hidden_group_size_x
      - .offset:         54
        .size:           2
        .value_kind:     hidden_group_size_y
      - .offset:         56
        .size:           2
        .value_kind:     hidden_group_size_z
      - .offset:         58
        .size:           2
        .value_kind:     hidden_remainder_x
      - .offset:         60
        .size:           2
        .value_kind:     hidden_remainder_y
      - .offset:         62
        .size:           2
        .value_kind:     hidden_remainder_z
      - .offset:         80
        .size:           8
        .value_kind:     hidden_global_offset_x
      - .offset:         88
        .size:           8
        .value_kind:     hidden_global_offset_y
      - .offset:         96
        .size:           8
        .value_kind:     hidden_global_offset_z
      - .offset:         104
        .size:           2
        .value_kind:     hidden_grid_dims
      - .offset:         160
        .size:           4
        .value_kind:     hidden_dynamic_lds_size
    .group_segment_fixed_size: 0
    .kernarg_segment_align: 8
    .kernarg_segment_size: 296
    .language:       OpenCL C
    .language_version:
      - 2
      - 0
    .max_flat_workgroup_size: 1024
    .name:           _Z35compute_probs_unitStrides_sharedMemPKdS0_Pdiii
    .private_segment_fixed_size: 0
    .sgpr_count:     30
    .sgpr_spill_count: 0
    .symbol:         _Z35compute_probs_unitStrides_sharedMemPKdS0_Pdiii.kd
    .uniform_work_group_size: 1
    .uses_dynamic_stack: false
    .vgpr_count:     16
    .vgpr_spill_count: 0
    .wavefront_size: 64
amdhsa.target:   amdgcn-amd-amdhsa--gfx90a
amdhsa.version:
  - 1
  - 2
...

	.end_amdgpu_metadata
